;; amdgpu-corpus repo=ROCm/rocFFT kind=compiled arch=gfx1201 opt=O3
	.text
	.amdgcn_target "amdgcn-amd-amdhsa--gfx1201"
	.amdhsa_code_object_version 6
	.protected	fft_rtc_fwd_len200_factors_10_10_2_wgs_60_tpt_20_halfLds_dp_op_CI_CI_unitstride_sbrr_R2C_dirReg ; -- Begin function fft_rtc_fwd_len200_factors_10_10_2_wgs_60_tpt_20_halfLds_dp_op_CI_CI_unitstride_sbrr_R2C_dirReg
	.globl	fft_rtc_fwd_len200_factors_10_10_2_wgs_60_tpt_20_halfLds_dp_op_CI_CI_unitstride_sbrr_R2C_dirReg
	.p2align	8
	.type	fft_rtc_fwd_len200_factors_10_10_2_wgs_60_tpt_20_halfLds_dp_op_CI_CI_unitstride_sbrr_R2C_dirReg,@function
fft_rtc_fwd_len200_factors_10_10_2_wgs_60_tpt_20_halfLds_dp_op_CI_CI_unitstride_sbrr_R2C_dirReg: ; @fft_rtc_fwd_len200_factors_10_10_2_wgs_60_tpt_20_halfLds_dp_op_CI_CI_unitstride_sbrr_R2C_dirReg
; %bb.0:
	s_load_b128 s[8:11], s[0:1], 0x0
	v_mul_u32_u24_e32 v1, 0xccd, v0
	s_clause 0x1
	s_load_b128 s[4:7], s[0:1], 0x58
	s_load_b128 s[12:15], s[0:1], 0x18
	v_dual_mov_b32 v3, 0 :: v_dual_mov_b32 v16, 0
	v_mov_b32_e32 v17, 0
	v_lshrrev_b32_e32 v1, 16, v1
	s_delay_alu instid0(VALU_DEP_1) | instskip(NEXT) | instid1(VALU_DEP_4)
	v_mad_co_u64_u32 v[1:2], null, ttmp9, 3, v[1:2]
	v_mov_b32_e32 v2, v3
	s_delay_alu instid0(VALU_DEP_4) | instskip(NEXT) | instid1(VALU_DEP_2)
	v_dual_mov_b32 v8, v16 :: v_dual_mov_b32 v9, v17
	v_dual_mov_b32 v13, v2 :: v_dual_mov_b32 v12, v1
	s_wait_kmcnt 0x0
	v_cmp_lt_u64_e64 s2, s[10:11], 2
	s_delay_alu instid0(VALU_DEP_1)
	s_and_b32 vcc_lo, exec_lo, s2
	s_cbranch_vccnz .LBB0_8
; %bb.1:
	s_load_b64 s[2:3], s[0:1], 0x10
	v_mov_b32_e32 v16, 0
	v_dual_mov_b32 v17, 0 :: v_dual_mov_b32 v6, v2
	s_delay_alu instid0(VALU_DEP_2) | instskip(SKIP_1) | instid1(VALU_DEP_2)
	v_dual_mov_b32 v5, v1 :: v_dual_mov_b32 v8, v16
	s_add_nc_u64 s[16:17], s[14:15], 8
	v_mov_b32_e32 v9, v17
	s_add_nc_u64 s[18:19], s[12:13], 8
	s_mov_b64 s[20:21], 1
	s_wait_kmcnt 0x0
	s_add_nc_u64 s[22:23], s[2:3], 8
	s_mov_b32 s3, 0
.LBB0_2:                                ; =>This Inner Loop Header: Depth=1
	s_load_b64 s[24:25], s[22:23], 0x0
                                        ; implicit-def: $vgpr12_vgpr13
	s_mov_b32 s2, exec_lo
	s_wait_kmcnt 0x0
	v_or_b32_e32 v4, s25, v6
	s_delay_alu instid0(VALU_DEP_1)
	v_cmpx_ne_u64_e32 0, v[3:4]
	s_wait_alu 0xfffe
	s_xor_b32 s26, exec_lo, s2
	s_cbranch_execz .LBB0_4
; %bb.3:                                ;   in Loop: Header=BB0_2 Depth=1
	s_cvt_f32_u32 s2, s24
	s_cvt_f32_u32 s27, s25
	s_sub_nc_u64 s[30:31], 0, s[24:25]
	s_wait_alu 0xfffe
	s_delay_alu instid0(SALU_CYCLE_1) | instskip(SKIP_1) | instid1(SALU_CYCLE_2)
	s_fmamk_f32 s2, s27, 0x4f800000, s2
	s_wait_alu 0xfffe
	v_s_rcp_f32 s2, s2
	s_delay_alu instid0(TRANS32_DEP_1) | instskip(SKIP_1) | instid1(SALU_CYCLE_2)
	s_mul_f32 s2, s2, 0x5f7ffffc
	s_wait_alu 0xfffe
	s_mul_f32 s27, s2, 0x2f800000
	s_wait_alu 0xfffe
	s_delay_alu instid0(SALU_CYCLE_2) | instskip(SKIP_1) | instid1(SALU_CYCLE_2)
	s_trunc_f32 s27, s27
	s_wait_alu 0xfffe
	s_fmamk_f32 s2, s27, 0xcf800000, s2
	s_cvt_u32_f32 s29, s27
	s_wait_alu 0xfffe
	s_delay_alu instid0(SALU_CYCLE_1) | instskip(SKIP_1) | instid1(SALU_CYCLE_2)
	s_cvt_u32_f32 s28, s2
	s_wait_alu 0xfffe
	s_mul_u64 s[34:35], s[30:31], s[28:29]
	s_wait_alu 0xfffe
	s_mul_hi_u32 s37, s28, s35
	s_mul_i32 s36, s28, s35
	s_mul_hi_u32 s2, s28, s34
	s_mul_i32 s33, s29, s34
	s_wait_alu 0xfffe
	s_add_nc_u64 s[36:37], s[2:3], s[36:37]
	s_mul_hi_u32 s27, s29, s34
	s_mul_hi_u32 s38, s29, s35
	s_add_co_u32 s2, s36, s33
	s_wait_alu 0xfffe
	s_add_co_ci_u32 s2, s37, s27
	s_mul_i32 s34, s29, s35
	s_add_co_ci_u32 s35, s38, 0
	s_wait_alu 0xfffe
	s_add_nc_u64 s[34:35], s[2:3], s[34:35]
	s_wait_alu 0xfffe
	v_add_co_u32 v2, s2, s28, s34
	s_delay_alu instid0(VALU_DEP_1) | instskip(SKIP_1) | instid1(VALU_DEP_1)
	s_cmp_lg_u32 s2, 0
	s_add_co_ci_u32 s29, s29, s35
	v_readfirstlane_b32 s28, v2
	s_wait_alu 0xfffe
	s_delay_alu instid0(VALU_DEP_1)
	s_mul_u64 s[30:31], s[30:31], s[28:29]
	s_wait_alu 0xfffe
	s_mul_hi_u32 s35, s28, s31
	s_mul_i32 s34, s28, s31
	s_mul_hi_u32 s2, s28, s30
	s_mul_i32 s33, s29, s30
	s_wait_alu 0xfffe
	s_add_nc_u64 s[34:35], s[2:3], s[34:35]
	s_mul_hi_u32 s27, s29, s30
	s_mul_hi_u32 s28, s29, s31
	s_wait_alu 0xfffe
	s_add_co_u32 s2, s34, s33
	s_add_co_ci_u32 s2, s35, s27
	s_mul_i32 s30, s29, s31
	s_add_co_ci_u32 s31, s28, 0
	s_wait_alu 0xfffe
	s_add_nc_u64 s[30:31], s[2:3], s[30:31]
	s_wait_alu 0xfffe
	v_add_co_u32 v2, s2, v2, s30
	s_delay_alu instid0(VALU_DEP_1) | instskip(SKIP_1) | instid1(VALU_DEP_1)
	s_cmp_lg_u32 s2, 0
	s_add_co_ci_u32 s2, s29, s31
	v_mul_hi_u32 v4, v5, v2
	s_wait_alu 0xfffe
	v_mad_co_u64_u32 v[10:11], null, v5, s2, 0
	v_mad_co_u64_u32 v[12:13], null, v6, v2, 0
	;; [unrolled: 1-line block ×3, first 2 shown]
	s_delay_alu instid0(VALU_DEP_3) | instskip(SKIP_1) | instid1(VALU_DEP_4)
	v_add_co_u32 v2, vcc_lo, v4, v10
	s_wait_alu 0xfffd
	v_add_co_ci_u32_e32 v4, vcc_lo, 0, v11, vcc_lo
	s_delay_alu instid0(VALU_DEP_2) | instskip(SKIP_1) | instid1(VALU_DEP_2)
	v_add_co_u32 v2, vcc_lo, v2, v12
	s_wait_alu 0xfffd
	v_add_co_ci_u32_e32 v2, vcc_lo, v4, v13, vcc_lo
	s_wait_alu 0xfffd
	v_add_co_ci_u32_e32 v4, vcc_lo, 0, v15, vcc_lo
	s_delay_alu instid0(VALU_DEP_2) | instskip(SKIP_1) | instid1(VALU_DEP_2)
	v_add_co_u32 v2, vcc_lo, v2, v14
	s_wait_alu 0xfffd
	v_add_co_ci_u32_e32 v4, vcc_lo, 0, v4, vcc_lo
	s_delay_alu instid0(VALU_DEP_2) | instskip(SKIP_1) | instid1(VALU_DEP_3)
	v_mul_lo_u32 v7, s25, v2
	v_mad_co_u64_u32 v[10:11], null, s24, v2, 0
	v_mul_lo_u32 v12, s24, v4
	s_delay_alu instid0(VALU_DEP_2) | instskip(NEXT) | instid1(VALU_DEP_2)
	v_sub_co_u32 v10, vcc_lo, v5, v10
	v_add3_u32 v7, v11, v12, v7
	s_delay_alu instid0(VALU_DEP_1) | instskip(SKIP_1) | instid1(VALU_DEP_1)
	v_sub_nc_u32_e32 v11, v6, v7
	s_wait_alu 0xfffd
	v_subrev_co_ci_u32_e64 v11, s2, s25, v11, vcc_lo
	v_add_co_u32 v12, s2, v2, 2
	s_wait_alu 0xf1ff
	v_add_co_ci_u32_e64 v13, s2, 0, v4, s2
	v_sub_co_u32 v14, s2, v10, s24
	v_sub_co_ci_u32_e32 v7, vcc_lo, v6, v7, vcc_lo
	s_wait_alu 0xf1ff
	v_subrev_co_ci_u32_e64 v11, s2, 0, v11, s2
	s_delay_alu instid0(VALU_DEP_3) | instskip(NEXT) | instid1(VALU_DEP_3)
	v_cmp_le_u32_e32 vcc_lo, s24, v14
	v_cmp_eq_u32_e64 s2, s25, v7
	s_wait_alu 0xfffd
	v_cndmask_b32_e64 v14, 0, -1, vcc_lo
	v_cmp_le_u32_e32 vcc_lo, s25, v11
	s_wait_alu 0xfffd
	v_cndmask_b32_e64 v15, 0, -1, vcc_lo
	v_cmp_le_u32_e32 vcc_lo, s24, v10
	;; [unrolled: 3-line block ×3, first 2 shown]
	s_wait_alu 0xfffd
	v_cndmask_b32_e64 v18, 0, -1, vcc_lo
	v_cmp_eq_u32_e32 vcc_lo, s25, v11
	s_wait_alu 0xf1ff
	s_delay_alu instid0(VALU_DEP_2)
	v_cndmask_b32_e64 v7, v18, v10, s2
	s_wait_alu 0xfffd
	v_cndmask_b32_e32 v11, v15, v14, vcc_lo
	v_add_co_u32 v14, vcc_lo, v2, 1
	s_wait_alu 0xfffd
	v_add_co_ci_u32_e32 v15, vcc_lo, 0, v4, vcc_lo
	s_delay_alu instid0(VALU_DEP_3) | instskip(SKIP_1) | instid1(VALU_DEP_2)
	v_cmp_ne_u32_e32 vcc_lo, 0, v11
	s_wait_alu 0xfffd
	v_dual_cndmask_b32 v10, v15, v13 :: v_dual_cndmask_b32 v11, v14, v12
	v_cmp_ne_u32_e32 vcc_lo, 0, v7
	s_wait_alu 0xfffd
	s_delay_alu instid0(VALU_DEP_2)
	v_dual_cndmask_b32 v13, v4, v10 :: v_dual_cndmask_b32 v12, v2, v11
.LBB0_4:                                ;   in Loop: Header=BB0_2 Depth=1
	s_wait_alu 0xfffe
	s_and_not1_saveexec_b32 s2, s26
	s_cbranch_execz .LBB0_6
; %bb.5:                                ;   in Loop: Header=BB0_2 Depth=1
	v_cvt_f32_u32_e32 v2, s24
	s_sub_co_i32 s26, 0, s24
	v_mov_b32_e32 v13, v3
	s_delay_alu instid0(VALU_DEP_2) | instskip(NEXT) | instid1(TRANS32_DEP_1)
	v_rcp_iflag_f32_e32 v2, v2
	v_mul_f32_e32 v2, 0x4f7ffffe, v2
	s_delay_alu instid0(VALU_DEP_1) | instskip(SKIP_1) | instid1(VALU_DEP_1)
	v_cvt_u32_f32_e32 v2, v2
	s_wait_alu 0xfffe
	v_mul_lo_u32 v4, s26, v2
	s_delay_alu instid0(VALU_DEP_1) | instskip(NEXT) | instid1(VALU_DEP_1)
	v_mul_hi_u32 v4, v2, v4
	v_add_nc_u32_e32 v2, v2, v4
	s_delay_alu instid0(VALU_DEP_1) | instskip(NEXT) | instid1(VALU_DEP_1)
	v_mul_hi_u32 v2, v5, v2
	v_mul_lo_u32 v4, v2, s24
	v_add_nc_u32_e32 v7, 1, v2
	s_delay_alu instid0(VALU_DEP_2) | instskip(NEXT) | instid1(VALU_DEP_1)
	v_sub_nc_u32_e32 v4, v5, v4
	v_subrev_nc_u32_e32 v10, s24, v4
	v_cmp_le_u32_e32 vcc_lo, s24, v4
	s_wait_alu 0xfffd
	s_delay_alu instid0(VALU_DEP_2) | instskip(SKIP_1) | instid1(VALU_DEP_2)
	v_cndmask_b32_e32 v4, v4, v10, vcc_lo
	v_cndmask_b32_e32 v2, v2, v7, vcc_lo
	v_cmp_le_u32_e32 vcc_lo, s24, v4
	s_delay_alu instid0(VALU_DEP_2) | instskip(SKIP_1) | instid1(VALU_DEP_1)
	v_add_nc_u32_e32 v7, 1, v2
	s_wait_alu 0xfffd
	v_cndmask_b32_e32 v12, v2, v7, vcc_lo
.LBB0_6:                                ;   in Loop: Header=BB0_2 Depth=1
	s_wait_alu 0xfffe
	s_or_b32 exec_lo, exec_lo, s2
	v_mul_lo_u32 v2, v13, s24
	s_delay_alu instid0(VALU_DEP_2)
	v_mul_lo_u32 v4, v12, s25
	s_load_b64 s[26:27], s[18:19], 0x0
	v_mad_co_u64_u32 v[10:11], null, v12, s24, 0
	s_load_b64 s[24:25], s[16:17], 0x0
	s_add_nc_u64 s[20:21], s[20:21], 1
	s_add_nc_u64 s[16:17], s[16:17], 8
	s_wait_alu 0xfffe
	v_cmp_ge_u64_e64 s2, s[20:21], s[10:11]
	s_add_nc_u64 s[18:19], s[18:19], 8
	s_add_nc_u64 s[22:23], s[22:23], 8
	v_add3_u32 v2, v11, v4, v2
	v_sub_co_u32 v4, vcc_lo, v5, v10
	s_wait_alu 0xfffd
	s_delay_alu instid0(VALU_DEP_2) | instskip(SKIP_2) | instid1(VALU_DEP_1)
	v_sub_co_ci_u32_e32 v2, vcc_lo, v6, v2, vcc_lo
	s_and_b32 vcc_lo, exec_lo, s2
	s_wait_kmcnt 0x0
	v_mul_lo_u32 v5, s26, v2
	v_mul_lo_u32 v6, s27, v4
	v_mad_co_u64_u32 v[16:17], null, s26, v4, v[16:17]
	v_mul_lo_u32 v2, s24, v2
	v_mul_lo_u32 v7, s25, v4
	v_mad_co_u64_u32 v[8:9], null, s24, v4, v[8:9]
	s_delay_alu instid0(VALU_DEP_4) | instskip(NEXT) | instid1(VALU_DEP_2)
	v_add3_u32 v17, v6, v17, v5
	v_add3_u32 v9, v7, v9, v2
	s_wait_alu 0xfffe
	s_cbranch_vccnz .LBB0_8
; %bb.7:                                ;   in Loop: Header=BB0_2 Depth=1
	v_dual_mov_b32 v5, v12 :: v_dual_mov_b32 v6, v13
	s_branch .LBB0_2
.LBB0_8:
	s_load_b64 s[0:1], s[0:1], 0x28
	v_mul_hi_u32 v2, 0xaaaaaaab, v1
	v_mul_hi_u32 v18, 0xccccccd, v0
	s_lshl_b64 s[10:11], s[10:11], 3
                                        ; implicit-def: $vgpr10
                                        ; implicit-def: $vgpr3
                                        ; implicit-def: $vgpr5
                                        ; implicit-def: $vgpr14
	s_delay_alu instid0(VALU_DEP_2) | instskip(NEXT) | instid1(VALU_DEP_1)
	v_lshrrev_b32_e32 v2, 1, v2
	v_lshl_add_u32 v2, v2, 1, v2
	s_delay_alu instid0(VALU_DEP_1) | instskip(SKIP_3) | instid1(VALU_DEP_1)
	v_sub_nc_u32_e32 v7, v1, v2
	s_wait_kmcnt 0x0
	v_cmp_gt_u64_e32 vcc_lo, s[0:1], v[12:13]
	v_cmp_le_u64_e64 s0, s[0:1], v[12:13]
                                        ; implicit-def: $vgpr1
	s_and_saveexec_b32 s1, s0
	s_wait_alu 0xfffe
	s_xor_b32 s0, exec_lo, s1
; %bb.9:
	v_mul_u32_u24_e32 v1, 20, v18
                                        ; implicit-def: $vgpr18
                                        ; implicit-def: $vgpr16_vgpr17
	s_delay_alu instid0(VALU_DEP_1) | instskip(SKIP_1) | instid1(VALU_DEP_2)
	v_sub_nc_u32_e32 v10, v0, v1
	v_mov_b32_e32 v11, 0
                                        ; implicit-def: $vgpr0
	v_add_nc_u32_e32 v14, 0x50, v10
	s_delay_alu instid0(VALU_DEP_2)
	v_dual_mov_b32 v2, v11 :: v_dual_add_nc_u32 v1, 20, v10
	v_dual_mov_b32 v4, v11 :: v_dual_add_nc_u32 v3, 40, v10
	;; [unrolled: 1-line block ×3, first 2 shown]
	v_mov_b32_e32 v15, v11
; %bb.10:
	s_wait_alu 0xfffe
	s_or_saveexec_b32 s1, s0
	v_mul_u32_u24_e32 v7, 0xc9, v7
	s_add_nc_u64 s[2:3], s[14:15], s[10:11]
	s_delay_alu instid0(VALU_DEP_1)
	v_lshlrev_b32_e32 v22, 4, v7
	s_wait_alu 0xfffe
	s_xor_b32 exec_lo, exec_lo, s1
	s_cbranch_execz .LBB0_12
; %bb.11:
	s_add_nc_u64 s[10:11], s[12:13], s[10:11]
	v_mul_u32_u24_e32 v5, 20, v18
	s_load_b64 s[10:11], s[10:11], 0x0
	s_delay_alu instid0(VALU_DEP_1) | instskip(NEXT) | instid1(VALU_DEP_1)
	v_sub_nc_u32_e32 v10, v0, v5
	v_dual_mov_b32 v11, 0 :: v_dual_add_nc_u32 v14, 0x50, v10
	s_delay_alu instid0(VALU_DEP_1)
	v_dual_mov_b32 v6, v11 :: v_dual_lshlrev_b32 v5, 4, v10
	v_mov_b32_e32 v15, v11
	s_wait_kmcnt 0x0
	v_mul_lo_u32 v3, s11, v12
	v_mul_lo_u32 v4, s10, v13
	v_mad_co_u64_u32 v[1:2], null, s10, v12, 0
	s_delay_alu instid0(VALU_DEP_1) | instskip(SKIP_1) | instid1(VALU_DEP_2)
	v_add3_u32 v2, v2, v4, v3
	v_lshlrev_b64_e32 v[3:4], 4, v[16:17]
	v_lshlrev_b64_e32 v[1:2], 4, v[1:2]
	s_delay_alu instid0(VALU_DEP_1) | instskip(SKIP_1) | instid1(VALU_DEP_2)
	v_add_co_u32 v0, s0, s4, v1
	s_wait_alu 0xf1ff
	v_add_co_ci_u32_e64 v1, s0, s5, v2, s0
	v_mov_b32_e32 v2, v11
	s_delay_alu instid0(VALU_DEP_3) | instskip(SKIP_1) | instid1(VALU_DEP_3)
	v_add_co_u32 v0, s0, v0, v3
	s_wait_alu 0xf1ff
	v_add_co_ci_u32_e64 v1, s0, v1, v4, s0
	v_mov_b32_e32 v4, v11
	s_delay_alu instid0(VALU_DEP_3) | instskip(SKIP_1) | instid1(VALU_DEP_3)
	v_add_co_u32 v0, s0, v0, v5
	s_wait_alu 0xf1ff
	v_add_co_ci_u32_e64 v1, s0, 0, v1, s0
	v_add_nc_u32_e32 v3, 40, v10
	s_clause 0x9
	global_load_b128 v[16:19], v[0:1], off
	global_load_b128 v[23:26], v[0:1], off offset:320
	global_load_b128 v[27:30], v[0:1], off offset:640
	;; [unrolled: 1-line block ×9, first 2 shown]
	v_add3_u32 v0, 0, v22, v5
	v_add_nc_u32_e32 v1, 20, v10
	v_add_nc_u32_e32 v5, 60, v10
	s_wait_loadcnt 0x9
	ds_store_b128 v0, v[16:19]
	s_wait_loadcnt 0x8
	ds_store_b128 v0, v[23:26] offset:320
	s_wait_loadcnt 0x7
	ds_store_b128 v0, v[27:30] offset:640
	;; [unrolled: 2-line block ×9, first 2 shown]
.LBB0_12:
	s_or_b32 exec_lo, exec_lo, s1
	v_lshlrev_b32_e32 v0, 4, v10
	s_load_b64 s[2:3], s[2:3], 0x0
	global_wb scope:SCOPE_SE
	s_wait_dscnt 0x0
	s_wait_kmcnt 0x0
	s_barrier_signal -1
	s_barrier_wait -1
	v_add3_u32 v7, 0, v0, v22
	global_inv scope:SCOPE_SE
	s_mov_b32 s10, 0x134454ff
	s_mov_b32 s11, 0x3fee6f0e
	;; [unrolled: 1-line block ×3, first 2 shown]
	ds_load_b128 v[16:19], v7 offset:960
	ds_load_b128 v[28:31], v7 offset:1600
	;; [unrolled: 1-line block ×8, first 2 shown]
	s_wait_alu 0xfffe
	s_mov_b32 s4, s10
	s_mov_b32 s14, 0x4755a5e
	;; [unrolled: 1-line block ×9, first 2 shown]
	v_cmp_gt_u32_e64 s0, 10, v10
	s_wait_dscnt 0x6
	v_add_f64_e64 v[84:85], v[16:17], -v[28:29]
	s_wait_dscnt 0x5
	v_add_f64_e32 v[20:21], v[28:29], v[32:33]
	s_wait_dscnt 0x4
	v_add_f64_e32 v[23:24], v[18:19], v[38:39]
	v_add_f64_e32 v[25:26], v[16:17], v[36:37]
	;; [unrolled: 1-line block ×3, first 2 shown]
	v_add_f64_e64 v[64:65], v[18:19], -v[38:39]
	v_add_f64_e64 v[68:69], v[28:29], -v[32:33]
	;; [unrolled: 1-line block ×4, first 2 shown]
	s_wait_dscnt 0x0
	v_add_f64_e32 v[76:77], v[48:49], v[52:53]
	v_add_f64_e32 v[80:81], v[50:51], v[54:55]
	v_add_f64_e64 v[86:87], v[28:29], -v[16:17]
	v_add_f64_e64 v[88:89], v[30:31], -v[18:19]
	;; [unrolled: 1-line block ×7, first 2 shown]
	v_add_f64_e32 v[16:17], v[40:41], v[16:17]
	v_add_f64_e32 v[18:19], v[42:43], v[18:19]
	v_add_f64_e64 v[112:113], v[50:51], -v[54:55]
	v_add_f64_e64 v[114:115], v[48:49], -v[52:53]
	v_fma_f64 v[20:21], v[20:21], -0.5, v[40:41]
	v_fma_f64 v[23:24], v[23:24], -0.5, v[42:43]
	;; [unrolled: 1-line block ×4, first 2 shown]
	ds_load_b128 v[56:59], v7 offset:2560
	v_add_nc_u32_e32 v26, 0, v22
	s_delay_alu instid0(VALU_DEP_1)
	v_add_nc_u32_e32 v27, v26, v0
	ds_load_b128 v[60:63], v27
	global_wb scope:SCOPE_SE
	s_wait_dscnt 0x0
	v_add_f64_e32 v[16:17], v[16:17], v[28:29]
	v_add_f64_e32 v[18:19], v[18:19], v[30:31]
	s_barrier_signal -1
	s_barrier_wait -1
	global_inv scope:SCOPE_SE
	v_add_f64_e32 v[78:79], v[44:45], v[56:57]
	v_add_f64_e32 v[82:83], v[46:47], v[58:59]
	v_add_f64_e64 v[40:41], v[46:47], -v[58:59]
	v_add_f64_e64 v[42:43], v[44:45], -v[56:57]
	v_add_f64_e32 v[108:109], v[60:61], v[44:45]
	v_add_f64_e32 v[110:111], v[62:63], v[46:47]
	v_fma_f64 v[76:77], v[76:77], -0.5, v[60:61]
	v_fma_f64 v[98:99], v[64:65], s[10:11], v[20:21]
	v_fma_f64 v[100:101], v[68:69], s[10:11], v[23:24]
	;; [unrolled: 1-line block ×3, first 2 shown]
	s_wait_alu 0xfffe
	v_fma_f64 v[70:71], v[66:67], s[4:5], v[70:71]
	v_fma_f64 v[20:21], v[64:65], s[4:5], v[20:21]
	;; [unrolled: 1-line block ×5, first 2 shown]
	v_add_f64_e32 v[16:17], v[16:17], v[32:33]
	v_add_f64_e32 v[18:19], v[18:19], v[34:35]
	v_fma_f64 v[60:61], v[78:79], -0.5, v[60:61]
	v_fma_f64 v[78:79], v[80:81], -0.5, v[62:63]
	;; [unrolled: 1-line block ×3, first 2 shown]
	v_add_f64_e32 v[80:81], v[84:85], v[90:91]
	v_add_f64_e32 v[82:83], v[86:87], v[92:93]
	v_add_f64_e32 v[84:85], v[88:89], v[94:95]
	v_add_f64_e64 v[92:93], v[46:47], -v[50:51]
	v_add_f64_e64 v[46:47], v[50:51], -v[46:47]
	;; [unrolled: 1-line block ×3, first 2 shown]
	v_add_f64_e32 v[50:51], v[110:111], v[50:51]
	v_fma_f64 v[28:29], v[40:41], s[10:11], v[76:77]
	v_fma_f64 v[86:87], v[66:67], s[14:15], v[98:99]
	;; [unrolled: 1-line block ×7, first 2 shown]
	v_add_f64_e32 v[66:67], v[96:97], v[104:105]
	v_fma_f64 v[70:71], v[68:69], s[14:15], v[106:107]
	v_add_f64_e64 v[72:73], v[44:45], -v[48:49]
	v_add_f64_e64 v[44:45], v[48:49], -v[44:45]
	v_add_f64_e32 v[48:49], v[108:109], v[48:49]
	v_add_f64_e64 v[98:99], v[58:59], -v[54:55]
	v_fma_f64 v[30:31], v[40:41], s[4:5], v[76:77]
	v_fma_f64 v[68:69], v[68:69], s[12:13], v[74:75]
	v_add_f64_e64 v[96:97], v[52:53], -v[56:57]
	v_add_f64_e64 v[100:101], v[54:55], -v[58:59]
	v_add_f64_e32 v[36:37], v[16:17], v[36:37]
	v_add_f64_e32 v[38:39], v[18:19], v[38:39]
	v_add_nc_u32_e32 v16, -10, v10
	v_fma_f64 v[76:77], v[112:113], s[4:5], v[60:61]
	v_fma_f64 v[60:61], v[112:113], s[10:11], v[60:61]
	;; [unrolled: 1-line block ×6, first 2 shown]
	s_wait_alu 0xf1ff
	v_cndmask_b32_e64 v16, v16, v10, s0
	v_add_f64_e32 v[50:51], v[50:51], v[54:55]
	v_fma_f64 v[28:29], v[112:113], s[14:15], v[28:29]
	v_fma_f64 v[74:75], v[80:81], s[16:17], v[86:87]
	;; [unrolled: 1-line block ×8, first 2 shown]
	v_add_f64_e32 v[72:73], v[72:73], v[94:95]
	v_add_f64_e32 v[48:49], v[48:49], v[52:53]
	;; [unrolled: 1-line block ×3, first 2 shown]
	v_fma_f64 v[30:31], v[112:113], s[12:13], v[30:31]
	v_add_f64_e32 v[44:45], v[44:45], v[96:97]
	v_add_f64_e32 v[46:47], v[46:47], v[100:101]
	v_fma_f64 v[32:33], v[40:41], s[14:15], v[76:77]
	v_fma_f64 v[34:35], v[40:41], s[12:13], v[60:61]
	;; [unrolled: 1-line block ×7, first 2 shown]
	v_add_f64_e32 v[50:51], v[50:51], v[58:59]
	v_mul_f64_e32 v[62:63], s[18:19], v[74:75]
	v_mul_f64_e32 v[66:67], s[10:11], v[86:87]
	;; [unrolled: 1-line block ×8, first 2 shown]
	v_add_f64_e32 v[48:49], v[48:49], v[56:57]
	v_fma_f64 v[56:57], v[72:73], s[16:17], v[28:29]
	v_fma_f64 v[58:59], v[72:73], s[16:17], v[30:31]
	;; [unrolled: 1-line block ×8, first 2 shown]
	v_add_f64_e64 v[30:31], v[50:51], -v[38:39]
	v_fma_f64 v[52:53], v[60:61], s[14:15], v[62:63]
	v_fma_f64 v[62:63], v[64:65], s[16:17], v[66:67]
	;; [unrolled: 1-line block ×3, first 2 shown]
	v_fma_f64 v[23:24], v[23:24], s[10:11], -v[68:69]
	v_fma_f64 v[68:69], v[86:87], s[16:17], v[78:79]
	v_fma_f64 v[64:65], v[70:71], s[14:15], -v[76:77]
	v_fma_f64 v[70:71], v[88:89], s[4:5], -v[82:83]
	;; [unrolled: 1-line block ×3, first 2 shown]
	v_add_f64_e32 v[19:20], v[50:51], v[38:39]
	v_mad_u32_u24 v21, 0x90, v10, v7
	v_add_f64_e32 v[17:18], v[48:49], v[36:37]
	v_add_f64_e64 v[28:29], v[48:49], -v[36:37]
	v_add_f64_e32 v[32:33], v[56:57], v[52:53]
	v_add_f64_e32 v[36:37], v[72:73], v[62:63]
	;; [unrolled: 1-line block ×8, first 2 shown]
	v_add_f64_e64 v[48:49], v[56:57], -v[52:53]
	v_add_f64_e64 v[50:51], v[92:93], -v[66:67]
	;; [unrolled: 1-line block ×5, first 2 shown]
	v_mov_b32_e32 v24, 0
	v_add_f64_e64 v[60:61], v[58:59], -v[64:65]
	v_add_f64_e64 v[58:59], v[94:95], -v[70:71]
	v_add_f64_e64 v[62:63], v[80:81], -v[74:75]
	v_mul_i32_i24_e32 v23, 9, v16
	ds_store_b128 v21, v[17:20]
	ds_store_b128 v21, v[32:35] offset:16
	ds_store_b128 v21, v[36:39] offset:32
	;; [unrolled: 1-line block ×9, first 2 shown]
	v_lshlrev_b64_e32 v[23:24], 4, v[23:24]
	global_wb scope:SCOPE_SE
	s_wait_dscnt 0x0
	s_barrier_signal -1
	s_barrier_wait -1
	global_inv scope:SCOPE_SE
	v_lshl_add_u32 v28, v5, 4, v26
	v_add_co_u32 v23, s0, s8, v23
	s_wait_alu 0xf1ff
	v_add_co_ci_u32_e64 v24, s0, s9, v24, s0
	s_clause 0x8
	global_load_b128 v[17:20], v[23:24], off offset:32
	global_load_b128 v[32:35], v[23:24], off offset:64
	;; [unrolled: 1-line block ×4, first 2 shown]
	global_load_b128 v[44:47], v[23:24], off
	global_load_b128 v[48:51], v[23:24], off offset:16
	global_load_b128 v[52:55], v[23:24], off offset:48
	;; [unrolled: 1-line block ×4, first 2 shown]
	ds_load_b128 v[64:67], v28
	ds_load_b128 v[68:71], v7 offset:1600
	ds_load_b128 v[72:75], v7 offset:2240
	;; [unrolled: 1-line block ×3, first 2 shown]
	ds_load_b128 v[80:83], v27
	v_lshl_add_u32 v31, v1, 4, v26
	v_lshl_add_u32 v30, v3, 4, v26
	;; [unrolled: 1-line block ×3, first 2 shown]
	v_cmp_lt_u32_e64 s0, 9, v10
	v_lshlrev_b64_e32 v[14:15], 4, v[14:15]
	ds_load_b128 v[84:87], v31
	ds_load_b128 v[88:91], v30
	s_wait_loadcnt_dscnt 0x806
	v_mul_f64_e32 v[23:24], v[66:67], v[19:20]
	v_mul_f64_e32 v[19:20], v[64:65], v[19:20]
	s_wait_loadcnt_dscnt 0x705
	v_mul_f64_e32 v[92:93], v[70:71], v[34:35]
	v_mul_f64_e32 v[34:35], v[68:69], v[34:35]
	s_wait_loadcnt_dscnt 0x604
	v_mul_f64_e32 v[94:95], v[72:73], v[38:39]
	s_wait_loadcnt_dscnt 0x503
	v_mul_f64_e32 v[96:97], v[76:77], v[42:43]
	v_mul_f64_e32 v[42:43], v[78:79], v[42:43]
	v_mul_f64_e32 v[38:39], v[74:75], v[38:39]
	s_wait_loadcnt_dscnt 0x401
	v_mul_f64_e32 v[98:99], v[86:87], v[46:47]
	v_mul_f64_e32 v[46:47], v[84:85], v[46:47]
	v_fma_f64 v[23:24], v[64:65], v[17:18], -v[23:24]
	v_fma_f64 v[64:65], v[66:67], v[17:18], v[19:20]
	v_fma_f64 v[66:67], v[68:69], v[32:33], -v[92:93]
	v_fma_f64 v[68:69], v[70:71], v[32:33], v[34:35]
	v_fma_f64 v[70:71], v[74:75], v[36:37], v[94:95]
	;; [unrolled: 1-line block ×3, first 2 shown]
	v_fma_f64 v[40:41], v[76:77], v[40:41], -v[42:43]
	v_fma_f64 v[42:43], v[72:73], v[36:37], -v[38:39]
	ds_load_b128 v[17:20], v29
	ds_load_b128 v[32:35], v7 offset:1920
	ds_load_b128 v[36:39], v7 offset:2560
	s_wait_loadcnt_dscnt 0x303
	v_mul_f64_e32 v[72:73], v[90:91], v[50:51]
	v_mul_f64_e32 v[50:51], v[88:89], v[50:51]
	v_fma_f64 v[84:85], v[84:85], v[44:45], -v[98:99]
	v_fma_f64 v[44:45], v[86:87], v[44:45], v[46:47]
	global_wb scope:SCOPE_SE
	s_wait_loadcnt_dscnt 0x0
	s_barrier_signal -1
	s_barrier_wait -1
	global_inv scope:SCOPE_SE
	v_mul_f64_e32 v[76:77], v[19:20], v[54:55]
	v_mul_f64_e32 v[54:55], v[17:18], v[54:55]
	;; [unrolled: 1-line block ×6, first 2 shown]
	v_add_f64_e64 v[98:99], v[64:65], -v[68:69]
	v_add_f64_e32 v[46:47], v[68:69], v[70:71]
	v_add_f64_e32 v[86:87], v[64:65], v[74:75]
	;; [unrolled: 1-line block ×4, first 2 shown]
	v_add_f64_e64 v[100:101], v[74:75], -v[70:71]
	v_fma_f64 v[72:73], v[88:89], v[48:49], -v[72:73]
	v_fma_f64 v[48:49], v[90:91], v[48:49], v[50:51]
	v_add_f64_e64 v[50:51], v[66:67], -v[42:43]
	v_add_f64_e64 v[90:91], v[23:24], -v[66:67]
	;; [unrolled: 1-line block ×4, first 2 shown]
	v_fma_f64 v[17:18], v[17:18], v[52:53], -v[76:77]
	v_fma_f64 v[19:20], v[19:20], v[52:53], v[54:55]
	v_fma_f64 v[32:33], v[32:33], v[56:57], -v[78:79]
	v_fma_f64 v[36:37], v[36:37], v[60:61], -v[92:93]
	v_fma_f64 v[34:35], v[34:35], v[56:57], v[58:59]
	v_fma_f64 v[38:39], v[38:39], v[60:61], v[62:63]
	v_add_f64_e64 v[54:55], v[64:65], -v[74:75]
	v_add_f64_e64 v[56:57], v[23:24], -v[40:41]
	;; [unrolled: 1-line block ×4, first 2 shown]
	v_fma_f64 v[46:47], v[46:47], -0.5, v[44:45]
	v_fma_f64 v[58:59], v[86:87], -0.5, v[44:45]
	;; [unrolled: 1-line block ×4, first 2 shown]
	v_add_f64_e64 v[94:95], v[66:67], -v[23:24]
	v_add_f64_e64 v[96:97], v[42:43], -v[40:41]
	v_add_f64_e32 v[114:115], v[80:81], v[72:73]
	v_add_f64_e32 v[116:117], v[82:83], v[48:49]
	;; [unrolled: 1-line block ×8, first 2 shown]
	v_add_f64_e64 v[118:119], v[17:18], -v[32:33]
	v_add_f64_e64 v[120:121], v[19:20], -v[34:35]
	;; [unrolled: 1-line block ×4, first 2 shown]
	v_fma_f64 v[106:107], v[56:57], s[4:5], v[46:47]
	v_fma_f64 v[108:109], v[50:51], s[10:11], v[58:59]
	;; [unrolled: 1-line block ×8, first 2 shown]
	v_add_f64_e32 v[23:24], v[23:24], v[66:67]
	v_add_f64_e32 v[44:45], v[44:45], v[68:69]
	v_fma_f64 v[76:77], v[76:77], -0.5, v[80:81]
	v_fma_f64 v[78:79], v[78:79], -0.5, v[80:81]
	v_fma_f64 v[80:81], v[86:87], -0.5, v[82:83]
	v_fma_f64 v[82:83], v[88:89], -0.5, v[82:83]
	v_add_f64_e32 v[86:87], v[90:91], v[92:93]
	v_add_f64_e32 v[88:89], v[94:95], v[96:97]
	;; [unrolled: 1-line block ×4, first 2 shown]
	v_add_f64_e64 v[102:103], v[38:39], -v[34:35]
	v_add_f64_e64 v[104:105], v[34:35], -v[38:39]
	v_fma_f64 v[94:95], v[50:51], s[12:13], v[106:107]
	v_fma_f64 v[96:97], v[56:57], s[12:13], v[108:109]
	v_fma_f64 v[98:99], v[54:55], s[12:13], v[110:111]
	v_fma_f64 v[100:101], v[52:53], s[12:13], v[112:113]
	v_fma_f64 v[52:53], v[52:53], s[14:15], v[62:63]
	v_fma_f64 v[54:55], v[54:55], s[14:15], v[60:61]
	v_fma_f64 v[56:57], v[56:57], s[14:15], v[58:59]
	v_fma_f64 v[46:47], v[50:51], s[14:15], v[46:47]
	v_add_f64_e64 v[50:51], v[72:73], -v[17:18]
	v_add_f64_e64 v[60:61], v[17:18], -v[72:73]
	;; [unrolled: 1-line block ×4, first 2 shown]
	v_add_f64_e32 v[17:18], v[114:115], v[17:18]
	v_add_f64_e32 v[19:20], v[116:117], v[19:20]
	v_add_f64_e64 v[58:59], v[36:37], -v[32:33]
	v_add_f64_e64 v[62:63], v[32:33], -v[36:37]
	v_add_f64_e32 v[23:24], v[23:24], v[42:43]
	v_fma_f64 v[66:67], v[64:65], s[10:11], v[76:77]
	v_fma_f64 v[68:69], v[64:65], s[4:5], v[76:77]
	;; [unrolled: 1-line block ×16, first 2 shown]
	v_add_f64_e32 v[48:49], v[48:49], v[104:105]
	v_add_f64_e32 v[17:18], v[17:18], v[32:33]
	;; [unrolled: 1-line block ×8, first 2 shown]
	v_fma_f64 v[34:35], v[120:121], s[14:15], v[66:67]
	v_fma_f64 v[42:43], v[120:121], s[12:13], v[68:69]
	v_fma_f64 v[44:45], v[64:65], s[14:15], v[76:77]
	v_fma_f64 v[62:63], v[64:65], s[12:13], v[78:79]
	v_fma_f64 v[64:65], v[118:119], s[12:13], v[106:107]
	v_fma_f64 v[66:67], v[118:119], s[14:15], v[80:81]
	v_fma_f64 v[68:69], v[84:85], s[12:13], v[108:109]
	v_fma_f64 v[70:71], v[84:85], s[14:15], v[82:83]
	v_mul_f64_e32 v[72:73], s[14:15], v[94:95]
	v_mul_f64_e32 v[76:77], s[10:11], v[96:97]
	;; [unrolled: 1-line block ×8, first 2 shown]
	v_add_f64_e32 v[17:18], v[17:18], v[36:37]
	v_add_f64_e32 v[19:20], v[19:20], v[38:39]
	;; [unrolled: 1-line block ×3, first 2 shown]
	v_fma_f64 v[74:75], v[50:51], s[16:17], v[34:35]
	v_fma_f64 v[90:91], v[50:51], s[16:17], v[42:43]
	;; [unrolled: 1-line block ×10, first 2 shown]
	v_fma_f64 v[68:69], v[56:57], s[10:11], -v[78:79]
	v_fma_f64 v[72:73], v[46:47], s[14:15], -v[80:81]
	v_fma_f64 v[76:77], v[94:95], s[18:19], v[82:83]
	v_fma_f64 v[78:79], v[96:97], s[16:17], v[84:85]
	v_fma_f64 v[80:81], v[98:99], s[4:5], -v[86:87]
	v_fma_f64 v[82:83], v[100:101], s[12:13], -v[88:89]
	v_lshlrev_b64_e32 v[84:85], 4, v[10:11]
	s_wait_alu 0xf1ff
	v_cndmask_b32_e64 v11, 0, 0x640, s0
	v_add_f64_e32 v[32:33], v[17:18], v[23:24]
	v_add_f64_e64 v[36:37], v[17:18], -v[23:24]
	v_add_f64_e32 v[34:35], v[19:20], v[38:39]
	v_add_f64_e64 v[38:39], v[19:20], -v[38:39]
	v_lshlrev_b64_e32 v[17:18], 4, v[1:2]
	v_lshlrev_b64_e32 v[23:24], 4, v[3:4]
	v_add_co_u32 v2, s0, s8, v84
	s_wait_alu 0xf1ff
	v_add_co_ci_u32_e64 v3, s0, s9, v85, s0
	v_lshlrev_b64_e32 v[4:5], 4, v[5:6]
	v_add_nc_u32_e32 v1, 0, v11
	v_add_co_u32 v20, s0, s8, v17
	v_lshlrev_b32_e32 v6, 4, v16
	s_wait_alu 0xf1ff
	v_add_co_ci_u32_e64 v21, s0, s9, v18, s0
	v_add_co_u32 v18, s0, s8, v23
	s_wait_alu 0xf1ff
	v_add_co_ci_u32_e64 v19, s0, s9, v24, s0
	v_add3_u32 v1, v1, v6, v22
	v_add_co_u32 v16, s0, s8, v4
	s_wait_alu 0xf1ff
	v_add_co_ci_u32_e64 v17, s0, s9, v5, s0
	v_add_f64_e32 v[40:41], v[74:75], v[60:61]
	v_add_f64_e32 v[44:45], v[92:93], v[64:65]
	;; [unrolled: 1-line block ×8, first 2 shown]
	v_add_f64_e64 v[56:57], v[74:75], -v[60:61]
	v_add_f64_e64 v[60:61], v[92:93], -v[64:65]
	;; [unrolled: 1-line block ×8, first 2 shown]
	v_add_co_u32 v14, s0, s8, v14
	ds_store_b128 v1, v[32:35]
	ds_store_b128 v1, v[40:43] offset:160
	ds_store_b128 v1, v[44:47] offset:320
	;; [unrolled: 1-line block ×9, first 2 shown]
	global_wb scope:SCOPE_SE
	s_wait_dscnt 0x0
	s_barrier_signal -1
	s_barrier_wait -1
	global_inv scope:SCOPE_SE
	s_clause 0x1
	global_load_b128 v[22:25], v[2:3], off offset:1440
	global_load_b128 v[32:35], v[20:21], off offset:1440
	s_wait_alu 0xf1ff
	v_add_co_ci_u32_e64 v15, s0, s9, v15, s0
	s_clause 0x2
	global_load_b128 v[36:39], v[18:19], off offset:1440
	global_load_b128 v[40:43], v[16:17], off offset:1440
	global_load_b128 v[44:47], v[14:15], off offset:1440
	ds_load_b128 v[48:51], v7 offset:1600
	ds_load_b128 v[52:55], v7 offset:1920
	;; [unrolled: 1-line block ×5, first 2 shown]
	ds_load_b128 v[68:71], v31
	v_sub_nc_u32_e32 v11, v26, v0
	v_cmp_ne_u32_e64 s0, 0, v10
                                        ; implicit-def: $vgpr0_vgpr1
	s_wait_loadcnt_dscnt 0x405
	v_mul_f64_e32 v[4:5], v[50:51], v[24:25]
	v_mul_f64_e32 v[24:25], v[48:49], v[24:25]
	s_wait_loadcnt_dscnt 0x304
	v_mul_f64_e32 v[72:73], v[54:55], v[34:35]
	v_mul_f64_e32 v[34:35], v[52:53], v[34:35]
	s_wait_loadcnt_dscnt 0x203
	v_mul_f64_e32 v[74:75], v[58:59], v[38:39]
	v_mul_f64_e32 v[38:39], v[56:57], v[38:39]
	s_wait_loadcnt_dscnt 0x102
	v_mul_f64_e32 v[76:77], v[62:63], v[42:43]
	v_mul_f64_e32 v[42:43], v[60:61], v[42:43]
	s_wait_loadcnt_dscnt 0x1
	v_mul_f64_e32 v[78:79], v[66:67], v[46:47]
	v_mul_f64_e32 v[46:47], v[64:65], v[46:47]
	v_fma_f64 v[4:5], v[48:49], v[22:23], -v[4:5]
	v_fma_f64 v[48:49], v[50:51], v[22:23], v[24:25]
	v_fma_f64 v[50:51], v[52:53], v[32:33], -v[72:73]
	v_fma_f64 v[52:53], v[54:55], v[32:33], v[34:35]
	;; [unrolled: 2-line block ×5, first 2 shown]
	ds_load_b128 v[22:25], v27
	ds_load_b128 v[32:35], v30
	;; [unrolled: 1-line block ×4, first 2 shown]
	global_wb scope:SCOPE_SE
	s_wait_dscnt 0x0
	s_barrier_signal -1
	s_barrier_wait -1
	global_inv scope:SCOPE_SE
	v_add_f64_e64 v[44:45], v[22:23], -v[4:5]
	v_add_f64_e64 v[46:47], v[24:25], -v[48:49]
	;; [unrolled: 1-line block ×10, first 2 shown]
	v_fma_f64 v[22:23], v[22:23], 2.0, -v[44:45]
	v_fma_f64 v[24:25], v[24:25], 2.0, -v[46:47]
	v_fma_f64 v[64:65], v[68:69], 2.0, -v[48:49]
	v_fma_f64 v[66:67], v[70:71], 2.0, -v[50:51]
	v_fma_f64 v[32:33], v[32:33], 2.0, -v[52:53]
	v_fma_f64 v[34:35], v[34:35], 2.0, -v[54:55]
	v_fma_f64 v[36:37], v[36:37], 2.0, -v[56:57]
	v_fma_f64 v[38:39], v[38:39], 2.0, -v[58:59]
	v_fma_f64 v[40:41], v[40:41], 2.0, -v[60:61]
	v_fma_f64 v[42:43], v[42:43], 2.0, -v[62:63]
	ds_store_b128 v7, v[44:47] offset:1600
	ds_store_b128 v7, v[22:25]
	ds_store_b128 v31, v[64:67]
	ds_store_b128 v31, v[48:51] offset:1600
	ds_store_b128 v30, v[32:35]
	ds_store_b128 v30, v[52:55] offset:1600
	;; [unrolled: 2-line block ×4, first 2 shown]
	global_wb scope:SCOPE_SE
	s_wait_dscnt 0x0
	s_barrier_signal -1
	s_barrier_wait -1
	global_inv scope:SCOPE_SE
	ds_load_b128 v[4:7], v27
                                        ; implicit-def: $vgpr22_vgpr23
                                        ; implicit-def: $vgpr24_vgpr25
	s_and_saveexec_b32 s1, s0
	s_wait_alu 0xfffe
	s_xor_b32 s0, exec_lo, s1
	s_cbranch_execz .LBB0_14
; %bb.13:
	global_load_b128 v[32:35], v[2:3], off offset:3040
	ds_load_b128 v[0:3], v11 offset:3200
	s_wait_dscnt 0x0
	v_add_f64_e64 v[22:23], v[4:5], -v[0:1]
	v_add_f64_e32 v[24:25], v[6:7], v[2:3]
	v_add_f64_e64 v[2:3], v[6:7], -v[2:3]
	v_add_f64_e32 v[0:1], v[4:5], v[0:1]
	s_delay_alu instid0(VALU_DEP_4) | instskip(NEXT) | instid1(VALU_DEP_4)
	v_mul_f64_e32 v[6:7], 0.5, v[22:23]
	v_mul_f64_e32 v[4:5], 0.5, v[24:25]
	s_delay_alu instid0(VALU_DEP_4) | instskip(SKIP_1) | instid1(VALU_DEP_3)
	v_mul_f64_e32 v[2:3], 0.5, v[2:3]
	s_wait_loadcnt 0x0
	v_mul_f64_e32 v[22:23], v[6:7], v[34:35]
	s_delay_alu instid0(VALU_DEP_2) | instskip(SKIP_1) | instid1(VALU_DEP_3)
	v_fma_f64 v[24:25], v[4:5], v[34:35], v[2:3]
	v_fma_f64 v[2:3], v[4:5], v[34:35], -v[2:3]
	v_fma_f64 v[36:37], v[0:1], 0.5, v[22:23]
	v_fma_f64 v[0:1], v[0:1], 0.5, -v[22:23]
	s_delay_alu instid0(VALU_DEP_4) | instskip(NEXT) | instid1(VALU_DEP_4)
	v_fma_f64 v[24:25], -v[32:33], v[6:7], v[24:25]
	v_fma_f64 v[2:3], -v[32:33], v[6:7], v[2:3]
	s_delay_alu instid0(VALU_DEP_4) | instskip(NEXT) | instid1(VALU_DEP_4)
	v_fma_f64 v[22:23], v[4:5], v[32:33], v[36:37]
	v_fma_f64 v[0:1], -v[4:5], v[32:33], v[0:1]
                                        ; implicit-def: $vgpr4_vgpr5
.LBB0_14:
	s_wait_alu 0xfffe
	s_and_not1_saveexec_b32 s0, s0
	s_cbranch_execz .LBB0_16
; %bb.15:
	s_wait_dscnt 0x0
	v_add_f64_e32 v[22:23], v[4:5], v[6:7]
	v_add_f64_e64 v[0:1], v[4:5], -v[6:7]
	ds_load_b64 v[4:5], v26 offset:1608
	v_mov_b32_e32 v24, 0
	v_mov_b32_e32 v25, 0
	s_delay_alu instid0(VALU_DEP_1)
	v_dual_mov_b32 v2, v24 :: v_dual_mov_b32 v3, v25
	s_wait_dscnt 0x0
	v_xor_b32_e32 v5, 0x80000000, v5
	ds_store_b64 v26, v[4:5] offset:1608
.LBB0_16:
	s_wait_alu 0xfffe
	s_or_b32 exec_lo, exec_lo, s0
	s_wait_dscnt 0x0
	s_clause 0x1
	global_load_b128 v[4:7], v[20:21], off offset:3040
	global_load_b128 v[18:21], v[18:19], off offset:3040
	ds_store_2addr_b64 v27, v[22:23], v[24:25] offset1:1
	ds_store_b128 v11, v[0:3] offset:3200
	ds_load_b128 v[0:3], v31
	ds_load_b128 v[22:25], v11 offset:2880
	s_wait_dscnt 0x0
	v_add_f64_e64 v[32:33], v[0:1], -v[22:23]
	v_add_f64_e32 v[34:35], v[2:3], v[24:25]
	v_add_f64_e64 v[2:3], v[2:3], -v[24:25]
	v_add_f64_e32 v[0:1], v[0:1], v[22:23]
	s_delay_alu instid0(VALU_DEP_4) | instskip(NEXT) | instid1(VALU_DEP_4)
	v_mul_f64_e32 v[24:25], 0.5, v[32:33]
	v_mul_f64_e32 v[32:33], 0.5, v[34:35]
	s_delay_alu instid0(VALU_DEP_4) | instskip(SKIP_1) | instid1(VALU_DEP_3)
	v_mul_f64_e32 v[2:3], 0.5, v[2:3]
	s_wait_loadcnt 0x1
	v_mul_f64_e32 v[22:23], v[24:25], v[6:7]
	s_delay_alu instid0(VALU_DEP_2) | instskip(SKIP_1) | instid1(VALU_DEP_3)
	v_fma_f64 v[34:35], v[32:33], v[6:7], v[2:3]
	v_fma_f64 v[2:3], v[32:33], v[6:7], -v[2:3]
	v_fma_f64 v[6:7], v[0:1], 0.5, v[22:23]
	v_fma_f64 v[0:1], v[0:1], 0.5, -v[22:23]
	s_delay_alu instid0(VALU_DEP_4) | instskip(NEXT) | instid1(VALU_DEP_4)
	v_fma_f64 v[22:23], -v[4:5], v[24:25], v[34:35]
	v_fma_f64 v[2:3], -v[4:5], v[24:25], v[2:3]
	s_delay_alu instid0(VALU_DEP_4) | instskip(NEXT) | instid1(VALU_DEP_4)
	v_fma_f64 v[24:25], v[32:33], v[4:5], v[6:7]
	v_fma_f64 v[0:1], -v[32:33], v[4:5], v[0:1]
	global_load_b128 v[4:7], v[16:17], off offset:3040
	ds_store_2addr_b64 v31, v[24:25], v[22:23] offset1:1
	ds_store_b128 v11, v[0:3] offset:2880
	ds_load_b128 v[0:3], v30
	ds_load_b128 v[22:25], v11 offset:2560
	s_wait_dscnt 0x0
	v_add_f64_e64 v[16:17], v[0:1], -v[22:23]
	v_add_f64_e32 v[31:32], v[2:3], v[24:25]
	v_add_f64_e64 v[2:3], v[2:3], -v[24:25]
	v_add_f64_e32 v[0:1], v[0:1], v[22:23]
	s_delay_alu instid0(VALU_DEP_4) | instskip(NEXT) | instid1(VALU_DEP_4)
	v_mul_f64_e32 v[16:17], 0.5, v[16:17]
	v_mul_f64_e32 v[24:25], 0.5, v[31:32]
	s_delay_alu instid0(VALU_DEP_4) | instskip(SKIP_1) | instid1(VALU_DEP_3)
	v_mul_f64_e32 v[2:3], 0.5, v[2:3]
	s_wait_loadcnt 0x1
	v_mul_f64_e32 v[22:23], v[16:17], v[20:21]
	s_delay_alu instid0(VALU_DEP_2) | instskip(SKIP_1) | instid1(VALU_DEP_3)
	v_fma_f64 v[31:32], v[24:25], v[20:21], v[2:3]
	v_fma_f64 v[2:3], v[24:25], v[20:21], -v[2:3]
	v_fma_f64 v[20:21], v[0:1], 0.5, v[22:23]
	v_fma_f64 v[0:1], v[0:1], 0.5, -v[22:23]
	s_delay_alu instid0(VALU_DEP_4) | instskip(NEXT) | instid1(VALU_DEP_4)
	v_fma_f64 v[22:23], -v[18:19], v[16:17], v[31:32]
	v_fma_f64 v[2:3], -v[18:19], v[16:17], v[2:3]
	global_load_b128 v[14:17], v[14:15], off offset:3040
	v_fma_f64 v[20:21], v[24:25], v[18:19], v[20:21]
	v_fma_f64 v[0:1], -v[24:25], v[18:19], v[0:1]
	ds_store_2addr_b64 v30, v[20:21], v[22:23] offset1:1
	ds_store_b128 v11, v[0:3] offset:2560
	ds_load_b128 v[0:3], v28
	ds_load_b128 v[18:21], v11 offset:2240
	s_wait_dscnt 0x0
	v_add_f64_e64 v[22:23], v[0:1], -v[18:19]
	v_add_f64_e32 v[24:25], v[2:3], v[20:21]
	v_add_f64_e64 v[2:3], v[2:3], -v[20:21]
	v_add_f64_e32 v[0:1], v[0:1], v[18:19]
	s_delay_alu instid0(VALU_DEP_4) | instskip(NEXT) | instid1(VALU_DEP_4)
	v_mul_f64_e32 v[20:21], 0.5, v[22:23]
	v_mul_f64_e32 v[22:23], 0.5, v[24:25]
	s_delay_alu instid0(VALU_DEP_4) | instskip(SKIP_1) | instid1(VALU_DEP_3)
	v_mul_f64_e32 v[2:3], 0.5, v[2:3]
	s_wait_loadcnt 0x1
	v_mul_f64_e32 v[18:19], v[20:21], v[6:7]
	s_delay_alu instid0(VALU_DEP_2) | instskip(SKIP_1) | instid1(VALU_DEP_3)
	v_fma_f64 v[24:25], v[22:23], v[6:7], v[2:3]
	v_fma_f64 v[2:3], v[22:23], v[6:7], -v[2:3]
	v_fma_f64 v[6:7], v[0:1], 0.5, v[18:19]
	v_fma_f64 v[0:1], v[0:1], 0.5, -v[18:19]
	s_delay_alu instid0(VALU_DEP_4) | instskip(NEXT) | instid1(VALU_DEP_4)
	v_fma_f64 v[18:19], -v[4:5], v[20:21], v[24:25]
	v_fma_f64 v[2:3], -v[4:5], v[20:21], v[2:3]
	s_delay_alu instid0(VALU_DEP_4) | instskip(NEXT) | instid1(VALU_DEP_4)
	v_fma_f64 v[6:7], v[22:23], v[4:5], v[6:7]
	v_fma_f64 v[0:1], -v[22:23], v[4:5], v[0:1]
	ds_store_2addr_b64 v28, v[6:7], v[18:19] offset1:1
	ds_store_b128 v11, v[0:3] offset:2240
	ds_load_b128 v[0:3], v29
	ds_load_b128 v[4:7], v11 offset:1920
	s_wait_dscnt 0x0
	v_add_f64_e64 v[18:19], v[0:1], -v[4:5]
	v_add_f64_e32 v[20:21], v[2:3], v[6:7]
	v_add_f64_e64 v[2:3], v[2:3], -v[6:7]
	v_add_f64_e32 v[0:1], v[0:1], v[4:5]
	s_delay_alu instid0(VALU_DEP_4) | instskip(NEXT) | instid1(VALU_DEP_4)
	v_mul_f64_e32 v[6:7], 0.5, v[18:19]
	v_mul_f64_e32 v[18:19], 0.5, v[20:21]
	s_delay_alu instid0(VALU_DEP_4) | instskip(SKIP_1) | instid1(VALU_DEP_3)
	v_mul_f64_e32 v[2:3], 0.5, v[2:3]
	s_wait_loadcnt 0x0
	v_mul_f64_e32 v[4:5], v[6:7], v[16:17]
	s_delay_alu instid0(VALU_DEP_2) | instskip(SKIP_1) | instid1(VALU_DEP_3)
	v_fma_f64 v[20:21], v[18:19], v[16:17], v[2:3]
	v_fma_f64 v[2:3], v[18:19], v[16:17], -v[2:3]
	v_fma_f64 v[16:17], v[0:1], 0.5, v[4:5]
	v_fma_f64 v[0:1], v[0:1], 0.5, -v[4:5]
	s_delay_alu instid0(VALU_DEP_4) | instskip(NEXT) | instid1(VALU_DEP_4)
	v_fma_f64 v[4:5], -v[14:15], v[6:7], v[20:21]
	v_fma_f64 v[2:3], -v[14:15], v[6:7], v[2:3]
	s_delay_alu instid0(VALU_DEP_4) | instskip(NEXT) | instid1(VALU_DEP_4)
	v_fma_f64 v[6:7], v[18:19], v[14:15], v[16:17]
	v_fma_f64 v[0:1], -v[18:19], v[14:15], v[0:1]
	ds_store_2addr_b64 v29, v[6:7], v[4:5] offset1:1
	ds_store_b128 v11, v[0:3] offset:1920
	global_wb scope:SCOPE_SE
	s_wait_dscnt 0x0
	s_barrier_signal -1
	s_barrier_wait -1
	global_inv scope:SCOPE_SE
	s_and_saveexec_b32 s0, vcc_lo
	s_cbranch_execz .LBB0_19
; %bb.17:
	v_mul_lo_u32 v2, s3, v12
	v_mul_lo_u32 v3, s2, v13
	v_mad_co_u64_u32 v[0:1], null, s2, v12, 0
	v_dual_mov_b32 v11, 0 :: v_dual_add_nc_u32 v16, 20, v10
	v_lshlrev_b64_e32 v[7:8], 4, v[8:9]
	v_add_nc_u32_e32 v28, 0x64, v10
	s_delay_alu instid0(VALU_DEP_3)
	v_dual_mov_b32 v31, v11 :: v_dual_add_nc_u32 v30, 0x78, v10
	v_add3_u32 v1, v1, v3, v2
	v_lshl_add_u32 v2, v10, 4, v26
	v_mov_b32_e32 v17, v11
	ds_load_b128 v[3:6], v2
	ds_load_b128 v[12:15], v2 offset:320
	v_lshlrev_b64_e32 v[0:1], 4, v[0:1]
	v_lshlrev_b64_e32 v[18:19], 4, v[10:11]
	v_mov_b32_e32 v29, v11
	s_delay_alu instid0(VALU_DEP_3) | instskip(SKIP_1) | instid1(VALU_DEP_4)
	v_add_co_u32 v0, vcc_lo, s6, v0
	s_wait_alu 0xfffd
	v_add_co_ci_u32_e32 v1, vcc_lo, s7, v1, vcc_lo
	s_delay_alu instid0(VALU_DEP_3) | instskip(NEXT) | instid1(VALU_DEP_3)
	v_lshlrev_b64_e32 v[28:29], 4, v[28:29]
	v_add_co_u32 v0, vcc_lo, v0, v7
	s_wait_alu 0xfffd
	s_delay_alu instid0(VALU_DEP_3) | instskip(SKIP_1) | instid1(VALU_DEP_3)
	v_add_co_ci_u32_e32 v1, vcc_lo, v1, v8, vcc_lo
	v_lshlrev_b64_e32 v[7:8], 4, v[16:17]
	v_add_co_u32 v16, vcc_lo, v0, v18
	v_add_nc_u32_e32 v18, 40, v10
	s_wait_alu 0xfffd
	v_add_co_ci_u32_e32 v17, vcc_lo, v1, v19, vcc_lo
	s_delay_alu instid0(VALU_DEP_4)
	v_add_co_u32 v7, vcc_lo, v0, v7
	v_mov_b32_e32 v19, v11
	s_wait_alu 0xfffd
	v_add_co_ci_u32_e32 v8, vcc_lo, v1, v8, vcc_lo
	s_wait_dscnt 0x1
	global_store_b128 v[16:17], v[3:6], off
	s_wait_dscnt 0x0
	global_store_b128 v[7:8], v[12:15], off
	v_mov_b32_e32 v8, v11
	v_lshlrev_b64_e32 v[3:4], 4, v[18:19]
	v_dual_mov_b32 v17, v11 :: v_dual_add_nc_u32 v16, 0x50, v10
	v_add_nc_u32_e32 v7, 60, v10
	s_delay_alu instid0(VALU_DEP_3) | instskip(SKIP_1) | instid1(VALU_DEP_4)
	v_add_co_u32 v24, vcc_lo, v0, v3
	s_wait_alu 0xfffd
	v_add_co_ci_u32_e32 v25, vcc_lo, v1, v4, vcc_lo
	ds_load_b128 v[3:6], v2 offset:640
	ds_load_b128 v[12:15], v2 offset:960
	v_lshlrev_b64_e32 v[26:27], 4, v[16:17]
	ds_load_b128 v[16:19], v2 offset:1280
	ds_load_b128 v[20:23], v2 offset:1600
	v_lshlrev_b64_e32 v[7:8], 4, v[7:8]
	s_delay_alu instid0(VALU_DEP_1) | instskip(SKIP_1) | instid1(VALU_DEP_2)
	v_add_co_u32 v7, vcc_lo, v0, v7
	s_wait_alu 0xfffd
	v_add_co_ci_u32_e32 v8, vcc_lo, v1, v8, vcc_lo
	v_add_co_u32 v26, vcc_lo, v0, v26
	s_wait_alu 0xfffd
	v_add_co_ci_u32_e32 v27, vcc_lo, v1, v27, vcc_lo
	;; [unrolled: 3-line block ×3, first 2 shown]
	s_wait_dscnt 0x3
	global_store_b128 v[24:25], v[3:6], off
	s_wait_dscnt 0x2
	global_store_b128 v[7:8], v[12:15], off
	;; [unrolled: 2-line block ×4, first 2 shown]
	v_mov_b32_e32 v8, v11
	v_lshlrev_b64_e32 v[3:4], 4, v[30:31]
	v_add_nc_u32_e32 v7, 0x8c, v10
	v_dual_mov_b32 v17, v11 :: v_dual_add_nc_u32 v16, 0xa0, v10
	v_dual_mov_b32 v29, v11 :: v_dual_add_nc_u32 v28, 0xb4, v10
	s_delay_alu instid0(VALU_DEP_4)
	v_add_co_u32 v24, vcc_lo, v0, v3
	s_wait_alu 0xfffd
	v_add_co_ci_u32_e32 v25, vcc_lo, v1, v4, vcc_lo
	ds_load_b128 v[3:6], v2 offset:1920
	ds_load_b128 v[12:15], v2 offset:2240
	v_lshlrev_b64_e32 v[7:8], 4, v[7:8]
	v_lshlrev_b64_e32 v[26:27], 4, v[16:17]
	ds_load_b128 v[16:19], v2 offset:2560
	ds_load_b128 v[20:23], v2 offset:2880
	v_lshlrev_b64_e32 v[28:29], 4, v[28:29]
	v_add_co_u32 v7, vcc_lo, v0, v7
	s_wait_alu 0xfffd
	v_add_co_ci_u32_e32 v8, vcc_lo, v1, v8, vcc_lo
	v_add_co_u32 v26, vcc_lo, v0, v26
	s_wait_alu 0xfffd
	v_add_co_ci_u32_e32 v27, vcc_lo, v1, v27, vcc_lo
	;; [unrolled: 3-line block ×3, first 2 shown]
	v_cmp_eq_u32_e32 vcc_lo, 19, v10
	s_wait_dscnt 0x3
	global_store_b128 v[24:25], v[3:6], off
	s_wait_dscnt 0x2
	global_store_b128 v[7:8], v[12:15], off
	;; [unrolled: 2-line block ×4, first 2 shown]
	s_and_b32 exec_lo, exec_lo, vcc_lo
	s_cbranch_execz .LBB0_19
; %bb.18:
	ds_load_b128 v[2:5], v2 offset:2896
	s_wait_dscnt 0x0
	global_store_b128 v[0:1], v[2:5], off offset:3200
.LBB0_19:
	s_nop 0
	s_sendmsg sendmsg(MSG_DEALLOC_VGPRS)
	s_endpgm
	.section	.rodata,"a",@progbits
	.p2align	6, 0x0
	.amdhsa_kernel fft_rtc_fwd_len200_factors_10_10_2_wgs_60_tpt_20_halfLds_dp_op_CI_CI_unitstride_sbrr_R2C_dirReg
		.amdhsa_group_segment_fixed_size 0
		.amdhsa_private_segment_fixed_size 0
		.amdhsa_kernarg_size 104
		.amdhsa_user_sgpr_count 2
		.amdhsa_user_sgpr_dispatch_ptr 0
		.amdhsa_user_sgpr_queue_ptr 0
		.amdhsa_user_sgpr_kernarg_segment_ptr 1
		.amdhsa_user_sgpr_dispatch_id 0
		.amdhsa_user_sgpr_private_segment_size 0
		.amdhsa_wavefront_size32 1
		.amdhsa_uses_dynamic_stack 0
		.amdhsa_enable_private_segment 0
		.amdhsa_system_sgpr_workgroup_id_x 1
		.amdhsa_system_sgpr_workgroup_id_y 0
		.amdhsa_system_sgpr_workgroup_id_z 0
		.amdhsa_system_sgpr_workgroup_info 0
		.amdhsa_system_vgpr_workitem_id 0
		.amdhsa_next_free_vgpr 122
		.amdhsa_next_free_sgpr 39
		.amdhsa_reserve_vcc 1
		.amdhsa_float_round_mode_32 0
		.amdhsa_float_round_mode_16_64 0
		.amdhsa_float_denorm_mode_32 3
		.amdhsa_float_denorm_mode_16_64 3
		.amdhsa_fp16_overflow 0
		.amdhsa_workgroup_processor_mode 1
		.amdhsa_memory_ordered 1
		.amdhsa_forward_progress 0
		.amdhsa_round_robin_scheduling 0
		.amdhsa_exception_fp_ieee_invalid_op 0
		.amdhsa_exception_fp_denorm_src 0
		.amdhsa_exception_fp_ieee_div_zero 0
		.amdhsa_exception_fp_ieee_overflow 0
		.amdhsa_exception_fp_ieee_underflow 0
		.amdhsa_exception_fp_ieee_inexact 0
		.amdhsa_exception_int_div_zero 0
	.end_amdhsa_kernel
	.text
.Lfunc_end0:
	.size	fft_rtc_fwd_len200_factors_10_10_2_wgs_60_tpt_20_halfLds_dp_op_CI_CI_unitstride_sbrr_R2C_dirReg, .Lfunc_end0-fft_rtc_fwd_len200_factors_10_10_2_wgs_60_tpt_20_halfLds_dp_op_CI_CI_unitstride_sbrr_R2C_dirReg
                                        ; -- End function
	.section	.AMDGPU.csdata,"",@progbits
; Kernel info:
; codeLenInByte = 7448
; NumSgprs: 41
; NumVgprs: 122
; ScratchSize: 0
; MemoryBound: 0
; FloatMode: 240
; IeeeMode: 1
; LDSByteSize: 0 bytes/workgroup (compile time only)
; SGPRBlocks: 5
; VGPRBlocks: 15
; NumSGPRsForWavesPerEU: 41
; NumVGPRsForWavesPerEU: 122
; Occupancy: 10
; WaveLimiterHint : 1
; COMPUTE_PGM_RSRC2:SCRATCH_EN: 0
; COMPUTE_PGM_RSRC2:USER_SGPR: 2
; COMPUTE_PGM_RSRC2:TRAP_HANDLER: 0
; COMPUTE_PGM_RSRC2:TGID_X_EN: 1
; COMPUTE_PGM_RSRC2:TGID_Y_EN: 0
; COMPUTE_PGM_RSRC2:TGID_Z_EN: 0
; COMPUTE_PGM_RSRC2:TIDIG_COMP_CNT: 0
	.text
	.p2alignl 7, 3214868480
	.fill 96, 4, 3214868480
	.type	__hip_cuid_3cf8a6007c578f6f,@object ; @__hip_cuid_3cf8a6007c578f6f
	.section	.bss,"aw",@nobits
	.globl	__hip_cuid_3cf8a6007c578f6f
__hip_cuid_3cf8a6007c578f6f:
	.byte	0                               ; 0x0
	.size	__hip_cuid_3cf8a6007c578f6f, 1

	.ident	"AMD clang version 19.0.0git (https://github.com/RadeonOpenCompute/llvm-project roc-6.4.0 25133 c7fe45cf4b819c5991fe208aaa96edf142730f1d)"
	.section	".note.GNU-stack","",@progbits
	.addrsig
	.addrsig_sym __hip_cuid_3cf8a6007c578f6f
	.amdgpu_metadata
---
amdhsa.kernels:
  - .args:
      - .actual_access:  read_only
        .address_space:  global
        .offset:         0
        .size:           8
        .value_kind:     global_buffer
      - .offset:         8
        .size:           8
        .value_kind:     by_value
      - .actual_access:  read_only
        .address_space:  global
        .offset:         16
        .size:           8
        .value_kind:     global_buffer
      - .actual_access:  read_only
        .address_space:  global
        .offset:         24
        .size:           8
        .value_kind:     global_buffer
      - .actual_access:  read_only
        .address_space:  global
        .offset:         32
        .size:           8
        .value_kind:     global_buffer
      - .offset:         40
        .size:           8
        .value_kind:     by_value
      - .actual_access:  read_only
        .address_space:  global
        .offset:         48
        .size:           8
        .value_kind:     global_buffer
      - .actual_access:  read_only
        .address_space:  global
        .offset:         56
        .size:           8
        .value_kind:     global_buffer
      - .offset:         64
        .size:           4
        .value_kind:     by_value
      - .actual_access:  read_only
        .address_space:  global
        .offset:         72
        .size:           8
        .value_kind:     global_buffer
      - .actual_access:  read_only
        .address_space:  global
        .offset:         80
        .size:           8
        .value_kind:     global_buffer
      - .actual_access:  read_only
        .address_space:  global
        .offset:         88
        .size:           8
        .value_kind:     global_buffer
      - .actual_access:  write_only
        .address_space:  global
        .offset:         96
        .size:           8
        .value_kind:     global_buffer
    .group_segment_fixed_size: 0
    .kernarg_segment_align: 8
    .kernarg_segment_size: 104
    .language:       OpenCL C
    .language_version:
      - 2
      - 0
    .max_flat_workgroup_size: 60
    .name:           fft_rtc_fwd_len200_factors_10_10_2_wgs_60_tpt_20_halfLds_dp_op_CI_CI_unitstride_sbrr_R2C_dirReg
    .private_segment_fixed_size: 0
    .sgpr_count:     41
    .sgpr_spill_count: 0
    .symbol:         fft_rtc_fwd_len200_factors_10_10_2_wgs_60_tpt_20_halfLds_dp_op_CI_CI_unitstride_sbrr_R2C_dirReg.kd
    .uniform_work_group_size: 1
    .uses_dynamic_stack: false
    .vgpr_count:     122
    .vgpr_spill_count: 0
    .wavefront_size: 32
    .workgroup_processor_mode: 1
amdhsa.target:   amdgcn-amd-amdhsa--gfx1201
amdhsa.version:
  - 1
  - 2
...

	.end_amdgpu_metadata
